;; amdgpu-corpus repo=ROCm/rocFFT kind=compiled arch=gfx1201 opt=O3
	.text
	.amdgcn_target "amdgcn-amd-amdhsa--gfx1201"
	.amdhsa_code_object_version 6
	.protected	fft_rtc_fwd_len1750_factors_2_5_5_7_5_wgs_175_tpt_175_halfLds_half_ip_CI_unitstride_sbrr_R2C_dirReg ; -- Begin function fft_rtc_fwd_len1750_factors_2_5_5_7_5_wgs_175_tpt_175_halfLds_half_ip_CI_unitstride_sbrr_R2C_dirReg
	.globl	fft_rtc_fwd_len1750_factors_2_5_5_7_5_wgs_175_tpt_175_halfLds_half_ip_CI_unitstride_sbrr_R2C_dirReg
	.p2align	8
	.type	fft_rtc_fwd_len1750_factors_2_5_5_7_5_wgs_175_tpt_175_halfLds_half_ip_CI_unitstride_sbrr_R2C_dirReg,@function
fft_rtc_fwd_len1750_factors_2_5_5_7_5_wgs_175_tpt_175_halfLds_half_ip_CI_unitstride_sbrr_R2C_dirReg: ; @fft_rtc_fwd_len1750_factors_2_5_5_7_5_wgs_175_tpt_175_halfLds_half_ip_CI_unitstride_sbrr_R2C_dirReg
; %bb.0:
	s_clause 0x2
	s_load_b128 s[4:7], s[0:1], 0x0
	s_load_b64 s[8:9], s[0:1], 0x50
	s_load_b64 s[10:11], s[0:1], 0x18
	v_mul_u32_u24_e32 v1, 0x177, v0
	v_mov_b32_e32 v3, 0
	s_delay_alu instid0(VALU_DEP_2) | instskip(NEXT) | instid1(VALU_DEP_1)
	v_lshrrev_b32_e32 v1, 16, v1
	v_add_nc_u32_e32 v5, ttmp9, v1
	v_mov_b32_e32 v1, 0
	v_mov_b32_e32 v2, 0
	;; [unrolled: 1-line block ×3, first 2 shown]
	s_wait_kmcnt 0x0
	v_cmp_lt_u64_e64 s2, s[6:7], 2
	s_delay_alu instid0(VALU_DEP_1)
	s_and_b32 vcc_lo, exec_lo, s2
	s_cbranch_vccnz .LBB0_8
; %bb.1:
	s_load_b64 s[2:3], s[0:1], 0x10
	v_mov_b32_e32 v1, 0
	v_mov_b32_e32 v2, 0
	s_add_nc_u64 s[12:13], s[10:11], 8
	s_mov_b64 s[14:15], 1
	s_wait_kmcnt 0x0
	s_add_nc_u64 s[16:17], s[2:3], 8
	s_mov_b32 s3, 0
.LBB0_2:                                ; =>This Inner Loop Header: Depth=1
	s_load_b64 s[18:19], s[16:17], 0x0
                                        ; implicit-def: $vgpr8_vgpr9
	s_mov_b32 s2, exec_lo
	s_wait_kmcnt 0x0
	v_or_b32_e32 v4, s19, v6
	s_delay_alu instid0(VALU_DEP_1)
	v_cmpx_ne_u64_e32 0, v[3:4]
	s_wait_alu 0xfffe
	s_xor_b32 s20, exec_lo, s2
	s_cbranch_execz .LBB0_4
; %bb.3:                                ;   in Loop: Header=BB0_2 Depth=1
	s_cvt_f32_u32 s2, s18
	s_cvt_f32_u32 s21, s19
	s_sub_nc_u64 s[24:25], 0, s[18:19]
	s_wait_alu 0xfffe
	s_delay_alu instid0(SALU_CYCLE_1) | instskip(SKIP_1) | instid1(SALU_CYCLE_2)
	s_fmamk_f32 s2, s21, 0x4f800000, s2
	s_wait_alu 0xfffe
	v_s_rcp_f32 s2, s2
	s_delay_alu instid0(TRANS32_DEP_1) | instskip(SKIP_1) | instid1(SALU_CYCLE_2)
	s_mul_f32 s2, s2, 0x5f7ffffc
	s_wait_alu 0xfffe
	s_mul_f32 s21, s2, 0x2f800000
	s_wait_alu 0xfffe
	s_delay_alu instid0(SALU_CYCLE_2) | instskip(SKIP_1) | instid1(SALU_CYCLE_2)
	s_trunc_f32 s21, s21
	s_wait_alu 0xfffe
	s_fmamk_f32 s2, s21, 0xcf800000, s2
	s_cvt_u32_f32 s23, s21
	s_wait_alu 0xfffe
	s_delay_alu instid0(SALU_CYCLE_1) | instskip(SKIP_1) | instid1(SALU_CYCLE_2)
	s_cvt_u32_f32 s22, s2
	s_wait_alu 0xfffe
	s_mul_u64 s[26:27], s[24:25], s[22:23]
	s_wait_alu 0xfffe
	s_mul_hi_u32 s29, s22, s27
	s_mul_i32 s28, s22, s27
	s_mul_hi_u32 s2, s22, s26
	s_mul_i32 s30, s23, s26
	s_wait_alu 0xfffe
	s_add_nc_u64 s[28:29], s[2:3], s[28:29]
	s_mul_hi_u32 s21, s23, s26
	s_mul_hi_u32 s31, s23, s27
	s_add_co_u32 s2, s28, s30
	s_wait_alu 0xfffe
	s_add_co_ci_u32 s2, s29, s21
	s_mul_i32 s26, s23, s27
	s_add_co_ci_u32 s27, s31, 0
	s_wait_alu 0xfffe
	s_add_nc_u64 s[26:27], s[2:3], s[26:27]
	s_wait_alu 0xfffe
	v_add_co_u32 v4, s2, s22, s26
	s_delay_alu instid0(VALU_DEP_1) | instskip(SKIP_1) | instid1(VALU_DEP_1)
	s_cmp_lg_u32 s2, 0
	s_add_co_ci_u32 s23, s23, s27
	v_readfirstlane_b32 s22, v4
	s_wait_alu 0xfffe
	s_delay_alu instid0(VALU_DEP_1)
	s_mul_u64 s[24:25], s[24:25], s[22:23]
	s_wait_alu 0xfffe
	s_mul_hi_u32 s27, s22, s25
	s_mul_i32 s26, s22, s25
	s_mul_hi_u32 s2, s22, s24
	s_mul_i32 s28, s23, s24
	s_wait_alu 0xfffe
	s_add_nc_u64 s[26:27], s[2:3], s[26:27]
	s_mul_hi_u32 s21, s23, s24
	s_mul_hi_u32 s22, s23, s25
	s_wait_alu 0xfffe
	s_add_co_u32 s2, s26, s28
	s_add_co_ci_u32 s2, s27, s21
	s_mul_i32 s24, s23, s25
	s_add_co_ci_u32 s25, s22, 0
	s_wait_alu 0xfffe
	s_add_nc_u64 s[24:25], s[2:3], s[24:25]
	s_wait_alu 0xfffe
	v_add_co_u32 v4, s2, v4, s24
	s_delay_alu instid0(VALU_DEP_1) | instskip(SKIP_1) | instid1(VALU_DEP_1)
	s_cmp_lg_u32 s2, 0
	s_add_co_ci_u32 s2, s23, s25
	v_mul_hi_u32 v13, v5, v4
	s_wait_alu 0xfffe
	v_mad_co_u64_u32 v[7:8], null, v5, s2, 0
	v_mad_co_u64_u32 v[9:10], null, v6, v4, 0
	;; [unrolled: 1-line block ×3, first 2 shown]
	s_delay_alu instid0(VALU_DEP_3) | instskip(SKIP_1) | instid1(VALU_DEP_4)
	v_add_co_u32 v4, vcc_lo, v13, v7
	s_wait_alu 0xfffd
	v_add_co_ci_u32_e32 v7, vcc_lo, 0, v8, vcc_lo
	s_delay_alu instid0(VALU_DEP_2) | instskip(SKIP_1) | instid1(VALU_DEP_2)
	v_add_co_u32 v4, vcc_lo, v4, v9
	s_wait_alu 0xfffd
	v_add_co_ci_u32_e32 v4, vcc_lo, v7, v10, vcc_lo
	s_wait_alu 0xfffd
	v_add_co_ci_u32_e32 v7, vcc_lo, 0, v12, vcc_lo
	s_delay_alu instid0(VALU_DEP_2) | instskip(SKIP_1) | instid1(VALU_DEP_2)
	v_add_co_u32 v4, vcc_lo, v4, v11
	s_wait_alu 0xfffd
	v_add_co_ci_u32_e32 v9, vcc_lo, 0, v7, vcc_lo
	s_delay_alu instid0(VALU_DEP_2) | instskip(SKIP_1) | instid1(VALU_DEP_3)
	v_mul_lo_u32 v10, s19, v4
	v_mad_co_u64_u32 v[7:8], null, s18, v4, 0
	v_mul_lo_u32 v11, s18, v9
	s_delay_alu instid0(VALU_DEP_2) | instskip(NEXT) | instid1(VALU_DEP_2)
	v_sub_co_u32 v7, vcc_lo, v5, v7
	v_add3_u32 v8, v8, v11, v10
	s_delay_alu instid0(VALU_DEP_1) | instskip(SKIP_1) | instid1(VALU_DEP_1)
	v_sub_nc_u32_e32 v10, v6, v8
	s_wait_alu 0xfffd
	v_subrev_co_ci_u32_e64 v10, s2, s19, v10, vcc_lo
	v_add_co_u32 v11, s2, v4, 2
	s_wait_alu 0xf1ff
	v_add_co_ci_u32_e64 v12, s2, 0, v9, s2
	v_sub_co_u32 v13, s2, v7, s18
	v_sub_co_ci_u32_e32 v8, vcc_lo, v6, v8, vcc_lo
	s_wait_alu 0xf1ff
	v_subrev_co_ci_u32_e64 v10, s2, 0, v10, s2
	s_delay_alu instid0(VALU_DEP_3) | instskip(NEXT) | instid1(VALU_DEP_3)
	v_cmp_le_u32_e32 vcc_lo, s18, v13
	v_cmp_eq_u32_e64 s2, s19, v8
	s_wait_alu 0xfffd
	v_cndmask_b32_e64 v13, 0, -1, vcc_lo
	v_cmp_le_u32_e32 vcc_lo, s19, v10
	s_wait_alu 0xfffd
	v_cndmask_b32_e64 v14, 0, -1, vcc_lo
	v_cmp_le_u32_e32 vcc_lo, s18, v7
	;; [unrolled: 3-line block ×3, first 2 shown]
	s_wait_alu 0xfffd
	v_cndmask_b32_e64 v15, 0, -1, vcc_lo
	v_cmp_eq_u32_e32 vcc_lo, s19, v10
	s_wait_alu 0xf1ff
	s_delay_alu instid0(VALU_DEP_2)
	v_cndmask_b32_e64 v7, v15, v7, s2
	s_wait_alu 0xfffd
	v_cndmask_b32_e32 v10, v14, v13, vcc_lo
	v_add_co_u32 v13, vcc_lo, v4, 1
	s_wait_alu 0xfffd
	v_add_co_ci_u32_e32 v14, vcc_lo, 0, v9, vcc_lo
	s_delay_alu instid0(VALU_DEP_3) | instskip(SKIP_1) | instid1(VALU_DEP_2)
	v_cmp_ne_u32_e32 vcc_lo, 0, v10
	s_wait_alu 0xfffd
	v_cndmask_b32_e32 v8, v14, v12, vcc_lo
	v_cndmask_b32_e32 v10, v13, v11, vcc_lo
	v_cmp_ne_u32_e32 vcc_lo, 0, v7
	s_wait_alu 0xfffd
	s_delay_alu instid0(VALU_DEP_2)
	v_dual_cndmask_b32 v9, v9, v8 :: v_dual_cndmask_b32 v8, v4, v10
.LBB0_4:                                ;   in Loop: Header=BB0_2 Depth=1
	s_wait_alu 0xfffe
	s_and_not1_saveexec_b32 s2, s20
	s_cbranch_execz .LBB0_6
; %bb.5:                                ;   in Loop: Header=BB0_2 Depth=1
	v_cvt_f32_u32_e32 v4, s18
	s_sub_co_i32 s20, 0, s18
	s_delay_alu instid0(VALU_DEP_1) | instskip(NEXT) | instid1(TRANS32_DEP_1)
	v_rcp_iflag_f32_e32 v4, v4
	v_mul_f32_e32 v4, 0x4f7ffffe, v4
	s_delay_alu instid0(VALU_DEP_1) | instskip(SKIP_1) | instid1(VALU_DEP_1)
	v_cvt_u32_f32_e32 v4, v4
	s_wait_alu 0xfffe
	v_mul_lo_u32 v7, s20, v4
	s_delay_alu instid0(VALU_DEP_1) | instskip(NEXT) | instid1(VALU_DEP_1)
	v_mul_hi_u32 v7, v4, v7
	v_add_nc_u32_e32 v4, v4, v7
	s_delay_alu instid0(VALU_DEP_1) | instskip(NEXT) | instid1(VALU_DEP_1)
	v_mul_hi_u32 v4, v5, v4
	v_mul_lo_u32 v7, v4, s18
	v_add_nc_u32_e32 v8, 1, v4
	s_delay_alu instid0(VALU_DEP_2) | instskip(NEXT) | instid1(VALU_DEP_1)
	v_sub_nc_u32_e32 v7, v5, v7
	v_subrev_nc_u32_e32 v9, s18, v7
	v_cmp_le_u32_e32 vcc_lo, s18, v7
	s_wait_alu 0xfffd
	s_delay_alu instid0(VALU_DEP_2) | instskip(SKIP_1) | instid1(VALU_DEP_2)
	v_cndmask_b32_e32 v7, v7, v9, vcc_lo
	v_dual_mov_b32 v9, v3 :: v_dual_cndmask_b32 v4, v4, v8
	v_cmp_le_u32_e32 vcc_lo, s18, v7
	s_delay_alu instid0(VALU_DEP_2) | instskip(SKIP_1) | instid1(VALU_DEP_1)
	v_add_nc_u32_e32 v8, 1, v4
	s_wait_alu 0xfffd
	v_cndmask_b32_e32 v8, v4, v8, vcc_lo
.LBB0_6:                                ;   in Loop: Header=BB0_2 Depth=1
	s_wait_alu 0xfffe
	s_or_b32 exec_lo, exec_lo, s2
	s_load_b64 s[20:21], s[12:13], 0x0
	v_mul_lo_u32 v4, v9, s18
	v_mul_lo_u32 v7, v8, s19
	v_mad_co_u64_u32 v[10:11], null, v8, s18, 0
	s_add_nc_u64 s[14:15], s[14:15], 1
	s_add_nc_u64 s[12:13], s[12:13], 8
	s_wait_alu 0xfffe
	v_cmp_ge_u64_e64 s2, s[14:15], s[6:7]
	s_add_nc_u64 s[16:17], s[16:17], 8
	s_delay_alu instid0(VALU_DEP_2) | instskip(NEXT) | instid1(VALU_DEP_3)
	v_add3_u32 v4, v11, v7, v4
	v_sub_co_u32 v5, vcc_lo, v5, v10
	s_wait_alu 0xfffd
	s_delay_alu instid0(VALU_DEP_2) | instskip(SKIP_3) | instid1(VALU_DEP_2)
	v_sub_co_ci_u32_e32 v4, vcc_lo, v6, v4, vcc_lo
	s_and_b32 vcc_lo, exec_lo, s2
	s_wait_kmcnt 0x0
	v_mul_lo_u32 v6, s21, v5
	v_mul_lo_u32 v4, s20, v4
	v_mad_co_u64_u32 v[1:2], null, s20, v5, v[1:2]
	s_delay_alu instid0(VALU_DEP_1)
	v_add3_u32 v2, v6, v2, v4
	s_wait_alu 0xfffe
	s_cbranch_vccnz .LBB0_9
; %bb.7:                                ;   in Loop: Header=BB0_2 Depth=1
	v_dual_mov_b32 v5, v8 :: v_dual_mov_b32 v6, v9
	s_branch .LBB0_2
.LBB0_8:
	v_dual_mov_b32 v9, v6 :: v_dual_mov_b32 v8, v5
.LBB0_9:
	s_lshl_b64 s[2:3], s[6:7], 3
	v_mul_hi_u32 v3, 0x1767dcf, v0
	s_wait_alu 0xfffe
	s_add_nc_u64 s[2:3], s[10:11], s[2:3]
	s_load_b64 s[0:1], s[0:1], 0x20
	s_load_b64 s[2:3], s[2:3], 0x0
	s_delay_alu instid0(VALU_DEP_1) | instskip(NEXT) | instid1(VALU_DEP_1)
	v_mul_u32_u24_e32 v3, 0xaf, v3
	v_sub_nc_u32_e32 v0, v0, v3
	s_delay_alu instid0(VALU_DEP_1)
	v_add_nc_u32_e32 v4, 0xaf, v0
	v_add_nc_u32_e32 v7, 0x15e, v0
	;; [unrolled: 1-line block ×3, first 2 shown]
	s_wait_kmcnt 0x0
	v_cmp_gt_u64_e32 vcc_lo, s[0:1], v[8:9]
	v_mul_lo_u32 v3, s2, v9
	v_mul_lo_u32 v5, s3, v8
	v_mad_co_u64_u32 v[1:2], null, s2, v8, v[1:2]
	v_cmp_le_u64_e64 s0, s[0:1], v[8:9]
	s_delay_alu instid0(VALU_DEP_2) | instskip(NEXT) | instid1(VALU_DEP_2)
	v_add3_u32 v2, v5, v2, v3
	s_and_saveexec_b32 s1, s0
	s_wait_alu 0xfffe
	s_xor_b32 s0, exec_lo, s1
; %bb.10:
	v_add_nc_u32_e32 v4, 0xaf, v0
	v_add_nc_u32_e32 v7, 0x15e, v0
	;; [unrolled: 1-line block ×3, first 2 shown]
; %bb.11:
	s_wait_alu 0xfffe
	s_or_saveexec_b32 s1, s0
	v_lshlrev_b64_e32 v[2:3], 2, v[1:2]
	s_wait_alu 0xfffe
	s_xor_b32 exec_lo, exec_lo, s1
	s_cbranch_execz .LBB0_13
; %bb.12:
	v_mov_b32_e32 v1, 0
	s_delay_alu instid0(VALU_DEP_1) | instskip(SKIP_3) | instid1(VALU_DEP_2)
	v_lshlrev_b64_e32 v[8:9], 2, v[0:1]
	v_add_co_u32 v1, s0, s8, v2
	s_wait_alu 0xf1ff
	v_add_co_ci_u32_e64 v5, s0, s9, v3, s0
	v_add_co_u32 v8, s0, v1, v8
	s_wait_alu 0xf1ff
	s_delay_alu instid0(VALU_DEP_2)
	v_add_co_ci_u32_e64 v9, s0, v5, v9, s0
	s_clause 0x9
	global_load_b32 v1, v[8:9], off
	global_load_b32 v5, v[8:9], off offset:700
	global_load_b32 v10, v[8:9], off offset:1400
	;; [unrolled: 1-line block ×9, first 2 shown]
	v_lshl_add_u32 v9, v0, 2, 0
	s_delay_alu instid0(VALU_DEP_1)
	v_add_nc_u32_e32 v18, 0xa00, v9
	v_add_nc_u32_e32 v17, 0x500, v9
	;; [unrolled: 1-line block ×4, first 2 shown]
	s_wait_loadcnt 0x8
	ds_store_2addr_b32 v9, v1, v5 offset1:175
	s_wait_loadcnt 0x6
	ds_store_2addr_b32 v17, v10, v11 offset0:30 offset1:205
	s_wait_loadcnt 0x4
	ds_store_2addr_b32 v18, v12, v13 offset0:60 offset1:235
	;; [unrolled: 2-line block ×4, first 2 shown]
.LBB0_13:
	s_or_b32 exec_lo, exec_lo, s1
	v_lshlrev_b32_e32 v8, 2, v0
	global_wb scope:SCOPE_SE
	s_wait_dscnt 0x0
	s_barrier_signal -1
	s_barrier_wait -1
	global_inv scope:SCOPE_SE
	v_add_nc_u32_e32 v23, 0, v8
	v_and_b32_e32 v24, 1, v0
	v_and_b32_e32 v28, 1, v4
	;; [unrolled: 1-line block ×3, first 2 shown]
	v_lshlrev_b32_e32 v25, 2, v6
	v_add_nc_u32_e32 v1, 0xa00, v23
	v_add_nc_u32_e32 v5, 0x1000, v23
	;; [unrolled: 1-line block ×4, first 2 shown]
	ds_load_2addr_b32 v[10:11], v23 offset1:175
	ds_load_2addr_b32 v[12:13], v1 offset0:60 offset1:235
	ds_load_2addr_b32 v[14:15], v5 offset0:26 offset1:201
	;; [unrolled: 1-line block ×4, first 2 shown]
	v_add_nc_u32_e32 v20, v23, v8
	v_lshl_add_u32 v9, v4, 3, 0
	v_lshl_add_u32 v1, v7, 3, 0
	;; [unrolled: 1-line block ×3, first 2 shown]
	v_lshlrev_b32_e32 v21, 4, v24
	v_add_nc_u32_e32 v22, 0x1068, v20
	global_wb scope:SCOPE_SE
	s_wait_dscnt 0x0
	s_barrier_signal -1
	s_barrier_wait -1
	global_inv scope:SCOPE_SE
	v_lshlrev_b32_e32 v26, 2, v7
	v_add_nc_u32_e32 v36, 0xd00, v23
	v_sub_nc_u32_e32 v30, v5, v25
	v_add_nc_u32_e32 v37, 0x1200, v23
	v_cmp_gt_u32_e64 s0, 0x4b, v0
	v_sub_nc_u32_e32 v31, v1, v26
	v_pk_add_f16 v13, v10, v13 neg_lo:[0,1] neg_hi:[0,1]
	v_pk_add_f16 v14, v11, v14 neg_lo:[0,1] neg_hi:[0,1]
	v_pk_add_f16 v15, v16, v15 neg_lo:[0,1] neg_hi:[0,1]
	v_pk_add_f16 v18, v17, v18 neg_lo:[0,1] neg_hi:[0,1]
	v_pk_add_f16 v19, v12, v19 neg_lo:[0,1] neg_hi:[0,1]
	v_pk_fma_f16 v10, v10, 2.0, v13 op_sel_hi:[1,0,1] neg_lo:[0,0,1] neg_hi:[0,0,1]
	v_pk_fma_f16 v11, v11, 2.0, v14 op_sel_hi:[1,0,1] neg_lo:[0,0,1] neg_hi:[0,0,1]
	;; [unrolled: 1-line block ×5, first 2 shown]
	ds_store_2addr_b32 v20, v10, v13 offset1:1
	ds_store_2addr_b32 v9, v11, v14 offset1:1
	;; [unrolled: 1-line block ×5, first 2 shown]
	v_lshlrev_b32_e32 v10, 4, v28
	global_wb scope:SCOPE_SE
	s_wait_dscnt 0x0
	s_barrier_signal -1
	s_barrier_wait -1
	global_inv scope:SCOPE_SE
	s_clause 0x1
	global_load_b128 v[11:14], v21, s[4:5]
	global_load_b128 v[15:18], v10, s[4:5]
	v_and_b32_e32 v19, 0xffff, v4
	v_mul_lo_u16 v20, 0xcd, v27
	v_lshlrev_b32_e32 v10, 2, v4
	v_lshrrev_b32_e32 v21, 1, v0
	v_lshrrev_b32_e32 v22, 1, v4
	v_mul_u32_u24_e32 v19, 0xcccd, v19
	v_lshrrev_b16 v29, 11, v20
	v_sub_nc_u32_e32 v32, v9, v10
	v_mul_u32_u24_e32 v33, 10, v21
	v_mul_lo_u32 v35, v22, 10
	v_lshrrev_b32_e32 v34, 19, v19
	v_mul_lo_u16 v19, v29, 10
	s_delay_alu instid0(VALU_DEP_4) | instskip(NEXT) | instid1(VALU_DEP_3)
	v_or_b32_e32 v24, v33, v24
	v_mul_lo_u16 v38, v34, 10
	s_delay_alu instid0(VALU_DEP_3)
	v_sub_nc_u16 v39, v0, v19
	ds_load_b32 v40, v23
	ds_load_2addr_b32 v[19:20], v36 offset0:43 offset1:218
	ds_load_b32 v41, v30
	ds_load_b32 v42, v32
	ds_load_2addr_b32 v[21:22], v37 offset0:73 offset1:248
	ds_load_b32 v43, v31
	ds_load_b32 v44, v23 offset:6300
	ds_load_b32 v45, v23 offset:2100
	v_or_b32_e32 v28, v35, v28
	v_sub_nc_u16 v38, v4, v38
	v_and_b32_e32 v33, 0xff, v39
	v_lshl_add_u32 v24, v24, 2, 0
	global_wb scope:SCOPE_SE
	s_wait_loadcnt_dscnt 0x0
	v_lshl_add_u32 v28, v28, 2, 0
	v_and_b32_e32 v35, 0xffff, v38
	v_lshlrev_b32_e32 v38, 4, v33
	s_barrier_signal -1
	s_barrier_wait -1
	global_inv scope:SCOPE_SE
	v_lshlrev_b32_e32 v39, 4, v35
	v_lshrrev_b32_e32 v46, 16, v40
	v_lshrrev_b32_e32 v53, 16, v20
	;; [unrolled: 1-line block ×10, first 2 shown]
	v_lshlrev_b32_e32 v33, 2, v33
	v_lshrrev_b32_e32 v56, 16, v11
	v_lshrrev_b32_e32 v57, 16, v12
	;; [unrolled: 1-line block ×8, first 2 shown]
	v_mul_f16_e32 v64, v56, v51
	v_mul_f16_e32 v56, v56, v43
	;; [unrolled: 1-line block ×16, first 2 shown]
	v_fma_f16 v43, v11, v43, -v64
	v_fmac_f16_e32 v56, v11, v51
	v_fma_f16 v11, v12, v41, -v65
	v_fmac_f16_e32 v57, v12, v52
	;; [unrolled: 2-line block ×8, first 2 shown]
	v_add_f16_e32 v18, v40, v43
	v_add_f16_e32 v19, v11, v12
	v_sub_f16_e32 v22, v43, v11
	v_sub_f16_e32 v41, v13, v12
	v_add_f16_e32 v44, v43, v13
	v_add_f16_e32 v49, v46, v56
	;; [unrolled: 1-line block ×4, first 2 shown]
	v_sub_f16_e32 v45, v11, v43
	v_sub_f16_e32 v48, v12, v13
	v_sub_f16_e32 v52, v56, v57
	v_sub_f16_e32 v53, v59, v58
	v_add_f16_e32 v64, v42, v14
	v_add_f16_e32 v65, v15, v16
	;; [unrolled: 1-line block ×6, first 2 shown]
	v_sub_f16_e32 v20, v56, v59
	v_sub_f16_e32 v43, v43, v13
	;; [unrolled: 1-line block ×3, first 2 shown]
	v_add_f16_e32 v11, v18, v11
	v_fma_f16 v18, -0.5, v19, v40
	v_add_f16_e32 v19, v22, v41
	v_fmac_f16_e32 v40, -0.5, v44
	v_add_f16_e32 v41, v49, v57
	v_fma_f16 v44, -0.5, v50, v46
	v_sub_f16_e32 v21, v57, v58
	v_sub_f16_e32 v55, v57, v56
	;; [unrolled: 1-line block ×7, first 2 shown]
	v_fmac_f16_e32 v46, -0.5, v54
	v_sub_f16_e32 v68, v14, v15
	v_sub_f16_e32 v71, v15, v14
	;; [unrolled: 1-line block ×4, first 2 shown]
	v_add_f16_e32 v22, v45, v48
	v_add_f16_e32 v45, v52, v53
	;; [unrolled: 1-line block ×3, first 2 shown]
	v_fma_f16 v49, -0.5, v65, v42
	v_add_f16_e32 v53, v73, v61
	v_fma_f16 v54, -0.5, v74, v47
	v_sub_f16_e32 v67, v61, v62
	v_fmac_f16_e32 v42, -0.5, v70
	v_fmac_f16_e32 v47, -0.5, v78
	v_add_f16_e32 v11, v11, v12
	v_fmamk_f16 v12, v20, 0x3b9c, v18
	v_add_f16_e32 v41, v41, v58
	v_fmamk_f16 v58, v43, 0xbb9c, v44
	v_add_f16_e32 v48, v55, v56
	v_add_f16_e32 v56, v60, v79
	v_fmamk_f16 v57, v21, 0xbb9c, v40
	v_fmac_f16_e32 v40, 0x3b9c, v21
	v_fmamk_f16 v60, v51, 0x3b9c, v46
	v_fmac_f16_e32 v46, 0xbb9c, v51
	v_fmac_f16_e32 v18, 0xbb9c, v20
	;; [unrolled: 1-line block ×3, first 2 shown]
	v_sub_f16_e32 v69, v17, v16
	v_sub_f16_e32 v72, v16, v17
	;; [unrolled: 1-line block ×3, first 2 shown]
	v_add_f16_e32 v15, v15, v16
	v_fmamk_f16 v16, v66, 0x3b9c, v49
	v_add_f16_e32 v53, v53, v62
	v_fmamk_f16 v62, v14, 0xbb9c, v54
	v_fmamk_f16 v61, v67, 0xbb9c, v42
	v_fmac_f16_e32 v42, 0x3b9c, v67
	v_fmamk_f16 v64, v75, 0x3b9c, v47
	v_fmac_f16_e32 v47, 0xbb9c, v75
	v_fmac_f16_e32 v49, 0xbb9c, v66
	;; [unrolled: 1-line block ×11, first 2 shown]
	v_add_f16_e32 v50, v68, v69
	v_add_f16_e32 v55, v76, v77
	v_fmac_f16_e32 v16, 0x38b4, v67
	v_fmac_f16_e32 v62, 0xb8b4, v75
	v_add_f16_e32 v52, v71, v72
	v_fmac_f16_e32 v61, 0x38b4, v66
	v_fmac_f16_e32 v42, 0xb8b4, v66
	;; [unrolled: 1-line block ×4, first 2 shown]
	v_add_f16_e32 v11, v11, v13
	v_add_f16_e32 v13, v41, v59
	v_fmac_f16_e32 v49, 0xb8b4, v67
	v_fmac_f16_e32 v54, 0x38b4, v75
	;; [unrolled: 1-line block ×4, first 2 shown]
	v_add_f16_e32 v15, v15, v17
	v_add_f16_e32 v17, v53, v63
	v_fmac_f16_e32 v57, 0x34f2, v22
	v_fmac_f16_e32 v40, 0x34f2, v22
	;; [unrolled: 1-line block ×14, first 2 shown]
	v_pack_b32_f16 v11, v11, v13
	v_pack_b32_f16 v12, v12, v58
	;; [unrolled: 1-line block ×10, first 2 shown]
	ds_store_2addr_b32 v24, v11, v12 offset1:2
	ds_store_2addr_b32 v24, v14, v15 offset0:4 offset1:6
	ds_store_b32 v24, v17 offset:32
	ds_store_2addr_b32 v28, v13, v16 offset1:2
	ds_store_2addr_b32 v28, v18, v19 offset0:4 offset1:6
	ds_store_b32 v28, v20 offset:32
	global_wb scope:SCOPE_SE
	s_wait_dscnt 0x0
	s_barrier_signal -1
	s_barrier_wait -1
	global_inv scope:SCOPE_SE
	s_clause 0x1
	global_load_b128 v[12:15], v38, s[4:5] offset:32
	global_load_b128 v[16:19], v39, s[4:5] offset:32
	v_and_b32_e32 v22, 0xffff, v29
	ds_load_b32 v24, v23
	ds_load_b32 v38, v30
	;; [unrolled: 1-line block ×3, first 2 shown]
	ds_load_2addr_b32 v[20:21], v36 offset0:43 offset1:218
	ds_load_2addr_b32 v[29:30], v37 offset0:73 offset1:248
	ds_load_b32 v32, v23 offset:6300
	ds_load_b32 v31, v31
	ds_load_b32 v36, v23 offset:2100
	v_mul_u32_u24_e32 v28, 0xc8, v34
	v_lshlrev_b32_e32 v34, 2, v35
	v_add_nc_u32_e32 v35, 0x7c0, v23
	v_mul_u32_u24_e32 v22, 0xc8, v22
	v_add_nc_u32_e32 v37, 0xfa0, v23
	global_wb scope:SCOPE_SE
	s_wait_loadcnt_dscnt 0x0
	s_barrier_signal -1
	s_barrier_wait -1
	v_add3_u32 v22, 0, v22, v33
	v_add3_u32 v33, 0, v28, v34
	global_inv scope:SCOPE_SE
	v_lshrrev_b32_e32 v34, 16, v24
	v_lshrrev_b32_e32 v43, 16, v38
	;; [unrolled: 1-line block ×18, first 2 shown]
	v_mul_f16_e32 v55, v47, v42
	v_mul_f16_e32 v47, v47, v31
	;; [unrolled: 1-line block ×16, first 2 shown]
	v_fma_f16 v31, v12, v31, -v55
	v_fmac_f16_e32 v47, v12, v42
	v_fma_f16 v12, v13, v38, -v56
	v_fmac_f16_e32 v48, v13, v43
	;; [unrolled: 2-line block ×8, first 2 shown]
	v_add_f16_e32 v19, v24, v31
	v_add_f16_e32 v20, v12, v13
	v_sub_f16_e32 v29, v31, v12
	v_sub_f16_e32 v30, v14, v13
	v_add_f16_e32 v36, v31, v14
	v_sub_f16_e32 v38, v12, v31
	v_sub_f16_e32 v39, v13, v14
	v_add_f16_e32 v40, v34, v47
	v_add_f16_e32 v41, v48, v49
	;; [unrolled: 1-line block ×3, first 2 shown]
	v_sub_f16_e32 v42, v31, v14
	v_sub_f16_e32 v31, v47, v48
	;; [unrolled: 1-line block ×3, first 2 shown]
	v_add_f16_e32 v55, v11, v15
	v_add_f16_e32 v56, v16, v17
	;; [unrolled: 1-line block ×6, first 2 shown]
	v_sub_f16_e32 v21, v47, v50
	v_add_f16_e32 v19, v19, v12
	v_fma_f16 v20, -0.5, v20, v24
	v_add_f16_e32 v71, v29, v30
	v_fmac_f16_e32 v24, -0.5, v36
	v_add_f16_e32 v36, v38, v39
	v_add_f16_e32 v29, v40, v48
	v_fma_f16 v38, -0.5, v41, v34
	v_sub_f16_e32 v32, v48, v49
	v_sub_f16_e32 v43, v12, v13
	;; [unrolled: 1-line block ×8, first 2 shown]
	v_fmac_f16_e32 v34, -0.5, v45
	v_sub_f16_e32 v59, v15, v16
	v_sub_f16_e32 v62, v16, v15
	;; [unrolled: 1-line block ×4, first 2 shown]
	v_add_f16_e32 v39, v31, v44
	v_add_f16_e32 v16, v55, v16
	v_fma_f16 v12, -0.5, v56, v11
	v_add_f16_e32 v30, v64, v52
	v_fma_f16 v31, -0.5, v65, v28
	v_sub_f16_e32 v58, v52, v53
	v_fmac_f16_e32 v11, -0.5, v61
	v_fmac_f16_e32 v28, -0.5, v69
	v_add_f16_e32 v13, v19, v13
	v_fmamk_f16 v19, v21, 0x3b9c, v20
	v_add_f16_e32 v48, v29, v49
	v_fmamk_f16 v49, v42, 0xbb9c, v38
	v_add_f16_e32 v40, v46, v47
	v_add_f16_e32 v46, v51, v70
	v_fmamk_f16 v47, v32, 0xbb9c, v24
	v_fmac_f16_e32 v24, 0x3b9c, v32
	v_fmamk_f16 v51, v43, 0x3b9c, v34
	v_fmac_f16_e32 v34, 0xbb9c, v43
	v_fmac_f16_e32 v20, 0xbb9c, v21
	;; [unrolled: 1-line block ×3, first 2 shown]
	v_sub_f16_e32 v60, v18, v17
	v_sub_f16_e32 v63, v17, v18
	;; [unrolled: 1-line block ×3, first 2 shown]
	v_add_f16_e32 v16, v16, v17
	v_fmamk_f16 v17, v57, 0x3b9c, v12
	v_add_f16_e32 v52, v30, v53
	v_fmamk_f16 v53, v15, 0xbb9c, v31
	v_fmamk_f16 v29, v58, 0xbb9c, v11
	v_fmac_f16_e32 v11, 0x3b9c, v58
	v_fmamk_f16 v30, v66, 0x3b9c, v28
	v_fmac_f16_e32 v28, 0xbb9c, v66
	v_fmac_f16_e32 v12, 0xbb9c, v57
	;; [unrolled: 1-line block ×11, first 2 shown]
	v_add_f16_e32 v41, v59, v60
	v_add_f16_e32 v45, v67, v68
	v_fmac_f16_e32 v17, 0x38b4, v58
	v_fmac_f16_e32 v53, 0xb8b4, v66
	v_add_f16_e32 v44, v62, v63
	v_fmac_f16_e32 v29, 0x38b4, v57
	v_fmac_f16_e32 v11, 0xb8b4, v57
	;; [unrolled: 1-line block ×4, first 2 shown]
	v_add_f16_e32 v13, v13, v14
	v_add_f16_e32 v14, v48, v50
	v_fmac_f16_e32 v12, 0xb8b4, v58
	v_fmac_f16_e32 v31, 0x38b4, v66
	;; [unrolled: 1-line block ×4, first 2 shown]
	v_add_f16_e32 v16, v16, v18
	v_add_f16_e32 v18, v52, v54
	v_fmac_f16_e32 v47, 0x34f2, v36
	v_fmac_f16_e32 v24, 0x34f2, v36
	;; [unrolled: 1-line block ×14, first 2 shown]
	v_pack_b32_f16 v13, v13, v14
	v_pack_b32_f16 v15, v19, v49
	;; [unrolled: 1-line block ×10, first 2 shown]
	ds_store_2addr_b32 v22, v13, v15 offset1:10
	ds_store_2addr_b32 v22, v16, v18 offset0:20 offset1:30
	ds_store_b32 v22, v19 offset:160
	ds_store_2addr_b32 v33, v14, v17 offset1:10
	ds_store_2addr_b32 v33, v20, v21 offset0:20 offset1:30
	ds_store_b32 v33, v24 offset:160
	global_wb scope:SCOPE_SE
	s_wait_dscnt 0x0
	s_barrier_signal -1
	s_barrier_wait -1
	global_inv scope:SCOPE_SE
	ds_load_2addr_b32 v[17:18], v23 offset1:250
	ds_load_2addr_b32 v[21:22], v35 offset0:4 offset1:254
	ds_load_2addr_b32 v[19:20], v37 offset1:250
	ds_load_b32 v35, v23 offset:6000
	v_sub_nc_u32_e32 v13, 0, v10
                                        ; implicit-def: $vgpr14
                                        ; implicit-def: $vgpr34
                                        ; implicit-def: $vgpr16
                                        ; implicit-def: $vgpr32
                                        ; implicit-def: $vgpr33
	s_delay_alu instid0(VALU_DEP_1)
	v_add_nc_u32_e32 v24, v9, v13
                                        ; implicit-def: $vgpr9
	s_and_saveexec_b32 s1, s0
	s_cbranch_execz .LBB0_15
; %bb.14:
	v_add_nc_u32_e32 v9, 0xe60, v23
	v_add_nc_u32_e32 v11, 0x1640, v23
	;; [unrolled: 1-line block ×3, first 2 shown]
	ds_load_b32 v29, v24
	ds_load_2addr_b32 v[13:14], v9 offset0:5 offset1:255
	ds_load_2addr_b32 v[15:16], v11 offset0:1 offset1:251
	;; [unrolled: 1-line block ×3, first 2 shown]
	ds_load_u16 v31, v23 offset:2702
	s_wait_dscnt 0x4
	v_lshrrev_b32_e32 v30, 16, v29
	s_wait_dscnt 0x3
	v_lshrrev_b32_e32 v33, 16, v13
	v_lshrrev_b32_e32 v9, 16, v14
	s_wait_dscnt 0x2
	v_lshrrev_b32_e32 v32, 16, v15
	;; [unrolled: 3-line block ×3, first 2 shown]
.LBB0_15:
	s_wait_alu 0xfffe
	s_or_b32 exec_lo, exec_lo, s1
	v_mul_lo_u16 v27, v27, 41
	s_wait_dscnt 0x3
	v_lshrrev_b32_e32 v43, 16, v18
	s_wait_dscnt 0x2
	v_lshrrev_b32_e32 v44, 16, v21
	;; [unrolled: 2-line block ×4, first 2 shown]
	v_lshrrev_b16 v27, 11, v27
	v_lshrrev_b32_e32 v45, 16, v22
	v_lshrrev_b32_e32 v46, 16, v19
	v_lshrrev_b32_e32 v49, 16, v17
	v_sub_nc_u32_e32 v26, 0, v26
	v_mul_lo_u16 v36, v27, 50
	v_and_b32_e32 v27, 0xffff, v27
	v_sub_nc_u32_e32 v25, 0, v25
	s_delay_alu instid0(VALU_DEP_3) | instskip(NEXT) | instid1(VALU_DEP_3)
	v_sub_nc_u16 v36, v0, v36
	v_mul_u32_u24_e32 v27, 0x578, v27
	s_delay_alu instid0(VALU_DEP_2) | instskip(NEXT) | instid1(VALU_DEP_1)
	v_and_b32_e32 v42, 0xff, v36
	v_mul_u32_u24_e32 v36, 6, v42
	v_lshlrev_b32_e32 v42, 2, v42
	s_delay_alu instid0(VALU_DEP_2) | instskip(NEXT) | instid1(VALU_DEP_2)
	v_lshlrev_b32_e32 v40, 2, v36
	v_add3_u32 v27, 0, v27, v42
	s_clause 0x1
	global_load_b128 v[36:39], v40, s[4:5] offset:192
	global_load_b64 v[40:41], v40, s[4:5] offset:208
	global_wb scope:SCOPE_SE
	s_wait_loadcnt 0x0
	s_barrier_signal -1
	s_barrier_wait -1
	global_inv scope:SCOPE_SE
	v_lshrrev_b32_e32 v42, 16, v36
	v_lshrrev_b32_e32 v50, 16, v37
	;; [unrolled: 1-line block ×6, first 2 shown]
	v_mul_f16_e32 v55, v42, v43
	v_mul_f16_e32 v42, v42, v18
	;; [unrolled: 1-line block ×12, first 2 shown]
	v_fma_f16 v18, v36, v18, -v55
	v_fmac_f16_e32 v42, v36, v43
	v_fma_f16 v21, v37, v21, -v56
	v_fmac_f16_e32 v50, v37, v44
	;; [unrolled: 2-line block ×6, first 2 shown]
	v_add_f16_e32 v36, v18, v35
	v_add_f16_e32 v37, v42, v54
	;; [unrolled: 1-line block ×4, first 2 shown]
	v_sub_f16_e32 v18, v18, v35
	v_sub_f16_e32 v35, v42, v54
	;; [unrolled: 1-line block ×4, first 2 shown]
	v_add_f16_e32 v40, v22, v19
	v_add_f16_e32 v41, v51, v52
	v_sub_f16_e32 v19, v19, v22
	v_sub_f16_e32 v22, v52, v51
	v_add_f16_e32 v42, v38, v36
	v_add_f16_e32 v43, v39, v37
	v_sub_f16_e32 v44, v38, v36
	v_sub_f16_e32 v45, v39, v37
	;; [unrolled: 1-line block ×6, first 2 shown]
	v_add_f16_e32 v46, v19, v20
	v_add_f16_e32 v47, v22, v21
	v_sub_f16_e32 v48, v19, v20
	v_sub_f16_e32 v50, v22, v21
	;; [unrolled: 1-line block ×4, first 2 shown]
	v_add_f16_e32 v40, v40, v42
	v_add_f16_e32 v41, v41, v43
	v_sub_f16_e32 v19, v18, v19
	v_sub_f16_e32 v22, v35, v22
	v_add_f16_e32 v18, v46, v18
	v_add_f16_e32 v35, v47, v35
	v_mul_f16_e32 v36, 0x3a52, v36
	v_mul_f16_e32 v37, 0x3a52, v37
	;; [unrolled: 1-line block ×8, first 2 shown]
	v_add_f16_e32 v17, v40, v17
	v_add_f16_e32 v49, v41, v49
	v_fmamk_f16 v38, v38, 0x2b26, v36
	v_fmamk_f16 v39, v39, 0x2b26, v37
	v_fma_f16 v42, v44, 0x39e0, -v42
	v_fma_f16 v43, v45, 0x39e0, -v43
	;; [unrolled: 1-line block ×4, first 2 shown]
	v_fmamk_f16 v44, v19, 0x3574, v46
	v_fmamk_f16 v45, v22, 0x3574, v47
	v_fma_f16 v20, v20, 0x3b00, -v46
	v_fma_f16 v21, v21, 0x3b00, -v47
	;; [unrolled: 1-line block ×4, first 2 shown]
	v_fmamk_f16 v40, v40, 0xbcab, v17
	v_fmamk_f16 v41, v41, 0xbcab, v49
	v_fmac_f16_e32 v44, 0x370e, v18
	v_fmac_f16_e32 v45, 0x370e, v35
	;; [unrolled: 1-line block ×6, first 2 shown]
	v_add_f16_e32 v18, v38, v40
	v_add_f16_e32 v35, v39, v41
	;; [unrolled: 1-line block ×7, first 2 shown]
	v_sub_f16_e32 v41, v35, v44
	v_add_f16_e32 v42, v22, v36
	v_sub_f16_e32 v43, v37, v19
	v_sub_f16_e32 v46, v38, v21
	v_add_f16_e32 v47, v20, v39
	v_add_f16_e32 v21, v21, v38
	v_sub_f16_e32 v20, v39, v20
	v_sub_f16_e32 v22, v36, v22
	v_add_f16_e32 v19, v19, v37
	v_sub_f16_e32 v18, v18, v45
	v_add_f16_e32 v35, v44, v35
	v_pack_b32_f16 v17, v17, v49
	v_pack_b32_f16 v36, v40, v41
	;; [unrolled: 1-line block ×7, first 2 shown]
	ds_store_2addr_b32 v27, v17, v36 offset1:50
	ds_store_2addr_b32 v27, v37, v38 offset0:100 offset1:150
	ds_store_2addr_b32 v27, v20, v19 offset0:200 offset1:250
	ds_store_b32 v27, v18 offset:1200
	s_and_saveexec_b32 s1, s0
	s_cbranch_execz .LBB0_17
; %bb.16:
	v_lshrrev_b16 v17, 1, v4
	v_and_b32_e32 v35, 0xff, v4
	s_delay_alu instid0(VALU_DEP_2) | instskip(NEXT) | instid1(VALU_DEP_2)
	v_and_b32_e32 v17, 0xffff, v17
	v_mul_lo_u16 v35, v35, 41
	s_delay_alu instid0(VALU_DEP_2) | instskip(NEXT) | instid1(VALU_DEP_2)
	v_mul_u32_u24_e32 v17, 0x147b, v17
	v_lshrrev_b16 v35, 11, v35
	s_delay_alu instid0(VALU_DEP_2) | instskip(NEXT) | instid1(VALU_DEP_2)
	v_lshrrev_b32_e32 v17, 17, v17
	v_and_b32_e32 v35, 0xffff, v35
	s_delay_alu instid0(VALU_DEP_2) | instskip(NEXT) | instid1(VALU_DEP_2)
	v_mul_lo_u16 v17, v17, 50
	v_mul_u32_u24_e32 v35, 0x578, v35
	s_delay_alu instid0(VALU_DEP_2) | instskip(NEXT) | instid1(VALU_DEP_1)
	v_sub_nc_u16 v17, v4, v17
	v_and_b32_e32 v27, 0xffff, v17
	s_delay_alu instid0(VALU_DEP_1) | instskip(SKIP_1) | instid1(VALU_DEP_2)
	v_mul_u32_u24_e32 v17, 6, v27
	v_lshlrev_b32_e32 v27, 2, v27
	v_lshlrev_b32_e32 v21, 2, v17
	s_delay_alu instid0(VALU_DEP_2)
	v_add3_u32 v27, 0, v35, v27
	s_clause 0x1
	global_load_b128 v[17:20], v21, s[4:5] offset:192
	global_load_b64 v[21:22], v21, s[4:5] offset:208
	s_wait_loadcnt 0x1
	v_lshrrev_b32_e32 v35, 16, v17
	v_lshrrev_b32_e32 v36, 16, v18
	s_wait_loadcnt 0x0
	v_lshrrev_b32_e32 v37, 16, v22
	v_lshrrev_b32_e32 v40, 16, v21
	;; [unrolled: 1-line block ×4, first 2 shown]
	v_mul_f16_e32 v41, v28, v35
	v_mul_f16_e32 v42, v34, v37
	;; [unrolled: 1-line block ×12, first 2 shown]
	v_fma_f16 v11, v11, v17, -v41
	v_fma_f16 v16, v16, v22, -v42
	;; [unrolled: 1-line block ×4, first 2 shown]
	v_fmac_f16_e32 v37, v34, v22
	v_fmac_f16_e32 v35, v28, v17
	;; [unrolled: 1-line block ×4, first 2 shown]
	v_fma_f16 v14, v14, v20, -v43
	v_fma_f16 v13, v13, v19, -v44
	v_fmac_f16_e32 v39, v33, v19
	v_fmac_f16_e32 v38, v9, v20
	v_sub_f16_e32 v9, v11, v16
	v_sub_f16_e32 v18, v12, v15
	v_add_f16_e32 v19, v35, v37
	v_add_f16_e32 v21, v36, v40
	;; [unrolled: 1-line block ×4, first 2 shown]
	v_sub_f16_e32 v17, v14, v13
	v_add_f16_e32 v20, v39, v38
	v_add_f16_e32 v13, v13, v14
	v_sub_f16_e32 v14, v35, v37
	v_sub_f16_e32 v15, v38, v39
	;; [unrolled: 1-line block ×3, first 2 shown]
	v_add_f16_e32 v33, v21, v19
	v_add_f16_e32 v36, v12, v11
	v_sub_f16_e32 v22, v9, v17
	v_sub_f16_e32 v28, v17, v18
	v_add_f16_e32 v17, v17, v18
	v_sub_f16_e32 v31, v19, v20
	v_sub_f16_e32 v32, v20, v21
	;; [unrolled: 1-line block ×6, first 2 shown]
	v_add_f16_e32 v15, v15, v16
	v_sub_f16_e32 v18, v18, v9
	v_sub_f16_e32 v11, v12, v11
	;; [unrolled: 1-line block ×3, first 2 shown]
	v_add_f16_e32 v20, v20, v33
	v_add_f16_e32 v13, v13, v36
	v_sub_f16_e32 v19, v21, v19
	v_mul_f16_e32 v16, 0xb846, v28
	v_add_f16_e32 v9, v17, v9
	v_mul_f16_e32 v17, 0x3a52, v31
	v_mul_f16_e32 v28, 0x3a52, v34
	;; [unrolled: 1-line block ×3, first 2 shown]
	v_add_f16_e32 v14, v15, v14
	v_mul_f16_e32 v15, 0x3b00, v18
	v_mul_f16_e32 v34, 0x3b00, v12
	v_add_f16_e32 v30, v30, v20
	v_add_f16_e32 v29, v29, v13
	v_mul_f16_e32 v21, 0x2b26, v32
	v_mul_f16_e32 v31, 0x2b26, v35
	v_fmamk_f16 v36, v22, 0x3574, v16
	v_fmamk_f16 v32, v32, 0x2b26, v17
	;; [unrolled: 1-line block ×4, first 2 shown]
	v_fma_f16 v15, v22, 0xb574, -v15
	v_fma_f16 v17, v19, 0xb9e0, -v17
	;; [unrolled: 1-line block ×6, first 2 shown]
	v_fmamk_f16 v18, v20, 0xbcab, v30
	v_fmamk_f16 v13, v13, 0xbcab, v29
	v_fma_f16 v19, v19, 0x39e0, -v21
	v_fma_f16 v11, v11, 0x39e0, -v31
	v_fmac_f16_e32 v36, 0x370e, v9
	v_fmac_f16_e32 v38, 0x370e, v14
	;; [unrolled: 1-line block ×5, first 2 shown]
	v_add_f16_e32 v14, v32, v18
	v_add_f16_e32 v20, v35, v13
	;; [unrolled: 1-line block ×3, first 2 shown]
	v_fmac_f16_e32 v16, 0x370e, v9
	v_add_f16_e32 v21, v22, v13
	v_add_f16_e32 v18, v19, v18
	;; [unrolled: 1-line block ×5, first 2 shown]
	v_sub_f16_e32 v15, v17, v15
	v_sub_f16_e32 v14, v14, v36
	v_add_f16_e32 v17, v38, v20
	v_pack_b32_f16 v9, v29, v30
	v_sub_f16_e32 v19, v20, v38
	v_sub_f16_e32 v29, v18, v16
	v_add_f16_e32 v16, v16, v18
	v_add_f16_e32 v18, v28, v21
	v_sub_f16_e32 v20, v11, v12
	v_add_f16_e32 v11, v12, v11
	v_sub_f16_e32 v12, v21, v28
	v_pack_b32_f16 v14, v17, v14
	v_pack_b32_f16 v15, v18, v15
	;; [unrolled: 1-line block ×6, first 2 shown]
	ds_store_2addr_b32 v27, v9, v14 offset1:50
	ds_store_2addr_b32 v27, v15, v16 offset0:100 offset1:150
	ds_store_2addr_b32 v27, v11, v12 offset0:200 offset1:250
	ds_store_b32 v27, v13 offset:1200
.LBB0_17:
	s_wait_alu 0xfffe
	s_or_b32 exec_lo, exec_lo, s1
	v_mov_b32_e32 v9, 0
	global_wb scope:SCOPE_SE
	s_wait_dscnt 0x0
	s_barrier_signal -1
	s_barrier_wait -1
	global_inv scope:SCOPE_SE
	v_lshlrev_b64_e32 v[12:13], 2, v[8:9]
	v_mov_b32_e32 v11, v9
	s_mov_b32 s1, exec_lo
	s_delay_alu instid0(VALU_DEP_1) | instskip(NEXT) | instid1(VALU_DEP_3)
	v_lshlrev_b64_e32 v[10:11], 2, v[10:11]
	v_add_co_u32 v12, s0, s4, v12
	s_wait_alu 0xf1ff
	v_add_co_ci_u32_e64 v13, s0, s5, v13, s0
	s_delay_alu instid0(VALU_DEP_3)
	v_add_co_u32 v10, s0, s4, v10
	global_load_b128 v[14:17], v[12:13], off offset:1392
	s_wait_alu 0xf1ff
	v_add_co_ci_u32_e64 v11, s0, s5, v11, s0
	global_load_b128 v[18:21], v[10:11], off offset:1392
	v_add_nc_u32_e32 v12, v5, v25
	v_add_nc_u32_e32 v5, 0xd00, v23
	;; [unrolled: 1-line block ×4, first 2 shown]
	ds_load_b32 v22, v23
	ds_load_b32 v27, v24
	ds_load_b32 v28, v23 offset:2100
	ds_load_b32 v1, v12
	ds_load_2addr_b32 v[10:11], v5 offset0:43 offset1:218
	ds_load_2addr_b32 v[25:26], v25 offset0:73 offset1:248
	ds_load_b32 v5, v23 offset:6300
	ds_load_b32 v29, v13
	global_wb scope:SCOPE_SE
	s_wait_loadcnt_dscnt 0x0
	s_barrier_signal -1
	s_barrier_wait -1
	global_inv scope:SCOPE_SE
	v_lshrrev_b32_e32 v37, 16, v1
	v_lshrrev_b32_e32 v38, 16, v11
	;; [unrolled: 1-line block ×14, first 2 shown]
	s_delay_alu instid0(VALU_DEP_4)
	v_mul_f16_e32 v44, v39, v36
	v_mul_f16_e32 v39, v39, v29
	;; [unrolled: 1-line block ×8, first 2 shown]
	v_lshrrev_b32_e32 v48, 16, v18
	v_lshrrev_b32_e32 v49, 16, v19
	;; [unrolled: 1-line block ×4, first 2 shown]
	v_fma_f16 v29, v14, v29, -v44
	v_fmac_f16_e32 v39, v14, v36
	v_fma_f16 v1, v15, v1, -v45
	v_fmac_f16_e32 v41, v15, v37
	;; [unrolled: 2-line block ×4, first 2 shown]
	v_mul_f16_e32 v15, v48, v32
	v_mul_f16_e32 v16, v48, v28
	;; [unrolled: 1-line block ×8, first 2 shown]
	v_fma_f16 v15, v18, v28, -v15
	v_fmac_f16_e32 v16, v18, v32
	v_fma_f16 v10, v10, v19, -v17
	v_fmac_f16_e32 v26, v33, v19
	;; [unrolled: 2-line block ×4, first 2 shown]
	v_add_f16_e32 v18, v22, v29
	v_add_f16_e32 v19, v1, v11
	v_sub_f16_e32 v25, v29, v1
	v_sub_f16_e32 v28, v14, v11
	v_add_f16_e32 v32, v29, v14
	v_sub_f16_e32 v33, v1, v29
	v_sub_f16_e32 v34, v11, v14
	v_add_f16_e32 v35, v30, v39
	v_add_f16_e32 v36, v41, v42
	v_sub_f16_e32 v44, v39, v41
	v_sub_f16_e32 v45, v43, v42
	v_add_f16_e32 v46, v39, v43
	v_sub_f16_e32 v20, v39, v43
	v_sub_f16_e32 v38, v1, v11
	;; [unrolled: 1-line block ×4, first 2 shown]
	v_add_f16_e32 v1, v18, v1
	v_fma_f16 v18, -0.5, v19, v22
	v_add_f16_e32 v19, v25, v28
	v_fmac_f16_e32 v22, -0.5, v32
	v_add_f16_e32 v25, v33, v34
	v_add_f16_e32 v28, v35, v41
	v_fma_f16 v32, -0.5, v36, v30
	v_add_f16_e32 v33, v44, v45
	v_add_f16_e32 v35, v27, v15
	v_add_f16_e32 v36, v10, v17
	v_sub_f16_e32 v44, v15, v10
	v_sub_f16_e32 v45, v5, v17
	v_add_f16_e32 v49, v31, v16
	v_add_f16_e32 v50, v26, v37
	v_sub_f16_e32 v21, v41, v42
	v_sub_f16_e32 v29, v29, v14
	v_fmac_f16_e32 v30, -0.5, v46
	v_add_f16_e32 v46, v15, v5
	v_add_f16_e32 v54, v16, v40
	;; [unrolled: 1-line block ×3, first 2 shown]
	v_sub_f16_e32 v39, v16, v40
	v_sub_f16_e32 v41, v26, v37
	;; [unrolled: 1-line block ×7, first 2 shown]
	v_add_f16_e32 v1, v1, v11
	v_fmamk_f16 v11, v20, 0x3b9c, v18
	v_fmac_f16_e32 v18, 0xbb9c, v20
	v_add_f16_e32 v10, v35, v10
	v_fma_f16 v35, -0.5, v36, v27
	v_add_f16_e32 v36, v44, v45
	v_add_f16_e32 v26, v49, v26
	v_fma_f16 v45, -0.5, v50, v31
	v_fmamk_f16 v56, v21, 0xbb9c, v22
	v_fmac_f16_e32 v22, 0x3b9c, v21
	v_add_f16_e32 v28, v28, v42
	v_fmamk_f16 v42, v29, 0xbb9c, v32
	v_fmac_f16_e32 v27, -0.5, v46
	v_fmac_f16_e32 v31, -0.5, v54
	v_fmamk_f16 v57, v38, 0x3b9c, v30
	v_fmac_f16_e32 v30, 0xbb9c, v38
	v_fmac_f16_e32 v32, 0x3b9c, v29
	v_sub_f16_e32 v48, v17, v5
	v_sub_f16_e32 v53, v40, v37
	v_fmac_f16_e32 v11, 0x38b4, v21
	v_fmac_f16_e32 v18, 0xb8b4, v21
	v_add_f16_e32 v10, v10, v17
	v_fmamk_f16 v17, v39, 0x3b9c, v35
	v_add_f16_e32 v21, v26, v37
	v_fmamk_f16 v26, v15, 0xbb9c, v45
	v_sub_f16_e32 v55, v37, v40
	v_add_f16_e32 v1, v1, v14
	v_fmac_f16_e32 v56, 0x38b4, v20
	v_fmac_f16_e32 v22, 0xb8b4, v20
	v_add_f16_e32 v14, v28, v43
	v_fmac_f16_e32 v42, 0xb8b4, v38
	v_fmamk_f16 v20, v41, 0xbb9c, v27
	v_fmamk_f16 v28, v51, 0x3b9c, v31
	v_fmac_f16_e32 v57, 0xb8b4, v29
	v_fmac_f16_e32 v27, 0x3b9c, v41
	;; [unrolled: 1-line block ×7, first 2 shown]
	v_add_f16_e32 v46, v52, v53
	v_fmac_f16_e32 v17, 0x38b4, v41
	v_fmac_f16_e32 v26, 0xb8b4, v51
	v_add_f16_e32 v44, v47, v48
	v_add_f16_e32 v16, v16, v55
	v_fmac_f16_e32 v11, 0x34f2, v19
	v_fmac_f16_e32 v42, 0x34f2, v33
	;; [unrolled: 1-line block ×14, first 2 shown]
	v_add_f16_e32 v5, v10, v5
	v_add_f16_e32 v10, v21, v40
	v_pack_b32_f16 v1, v1, v14
	v_fmac_f16_e32 v17, 0x34f2, v36
	v_fmac_f16_e32 v26, 0x34f2, v46
	;; [unrolled: 1-line block ×4, first 2 shown]
	v_pack_b32_f16 v11, v11, v42
	v_fmac_f16_e32 v27, 0x34f2, v44
	v_fmac_f16_e32 v31, 0x34f2, v16
	v_pack_b32_f16 v14, v56, v57
	v_fmac_f16_e32 v35, 0x34f2, v36
	v_fmac_f16_e32 v45, 0x34f2, v46
	v_pack_b32_f16 v15, v22, v30
	v_pack_b32_f16 v16, v18, v32
	;; [unrolled: 1-line block ×3, first 2 shown]
	ds_store_b32 v23, v1
	ds_store_b32 v23, v11 offset:1400
	ds_store_b32 v23, v14 offset:2800
	;; [unrolled: 1-line block ×4, first 2 shown]
	v_pack_b32_f16 v1, v17, v26
	v_pack_b32_f16 v10, v20, v28
	;; [unrolled: 1-line block ×4, first 2 shown]
	ds_store_b32 v24, v5
	ds_store_b32 v24, v1 offset:1400
	ds_store_b32 v24, v10 offset:2800
	;; [unrolled: 1-line block ×4, first 2 shown]
	global_wb scope:SCOPE_SE
	s_wait_dscnt 0x0
	s_barrier_signal -1
	s_barrier_wait -1
	global_inv scope:SCOPE_SE
	ds_load_b32 v5, v23
	v_sub_nc_u32_e32 v14, 0, v8
                                        ; implicit-def: $vgpr17
                                        ; implicit-def: $vgpr16
                                        ; implicit-def: $vgpr15
                                        ; implicit-def: $vgpr10_vgpr11
	v_cmpx_ne_u32_e32 0, v0
	s_wait_alu 0xfffe
	s_xor_b32 s1, exec_lo, s1
	s_cbranch_execz .LBB0_19
; %bb.18:
	v_mov_b32_e32 v1, v9
	s_delay_alu instid0(VALU_DEP_1) | instskip(NEXT) | instid1(VALU_DEP_1)
	v_lshlrev_b64_e32 v[8:9], 2, v[0:1]
	v_add_co_u32 v8, s0, s4, v8
	s_wait_alu 0xf1ff
	s_delay_alu instid0(VALU_DEP_2)
	v_add_co_ci_u32_e64 v9, s0, s5, v9, s0
	global_load_b32 v8, v[8:9], off offset:6992
	ds_load_b32 v9, v14 offset:7000
	s_wait_dscnt 0x0
	v_pk_add_f16 v10, v5, v9 neg_lo:[0,1] neg_hi:[0,1]
	v_pk_add_f16 v5, v9, v5
	s_delay_alu instid0(VALU_DEP_1) | instskip(SKIP_1) | instid1(VALU_DEP_2)
	v_bfi_b32 v9, 0xffff, v10, v5
	v_bfi_b32 v5, 0xffff, v5, v10
	v_pk_mul_f16 v9, v9, 0.5 op_sel_hi:[1,0]
	s_delay_alu instid0(VALU_DEP_2) | instskip(SKIP_1) | instid1(VALU_DEP_2)
	v_pk_mul_f16 v11, v5, 0.5 op_sel_hi:[1,0]
	s_wait_loadcnt 0x0
	v_pk_mul_f16 v10, v8, v9 op_sel:[1,0]
	v_pk_mul_f16 v8, v8, v9 op_sel_hi:[0,1]
	s_delay_alu instid0(VALU_DEP_3) | instskip(NEXT) | instid1(VALU_DEP_3)
	v_lshrrev_b32_e32 v9, 16, v11
	v_pk_fma_f16 v5, v5, 0.5, v10 op_sel_hi:[1,0,1]
	v_lshrrev_b32_e32 v15, 16, v10
	v_sub_f16_e32 v10, v11, v10
	v_lshrrev_b32_e32 v11, 16, v8
	s_delay_alu instid0(VALU_DEP_4) | instskip(SKIP_2) | instid1(VALU_DEP_4)
	v_pk_add_f16 v17, v5, v8 op_sel:[0,1] op_sel_hi:[1,0]
	v_pk_add_f16 v5, v5, v8 op_sel:[0,1] op_sel_hi:[1,0] neg_lo:[0,1] neg_hi:[0,1]
	v_sub_f16_e32 v9, v15, v9
	v_sub_f16_e32 v16, v10, v11
	v_dual_mov_b32 v11, v1 :: v_dual_mov_b32 v10, v0
	s_delay_alu instid0(VALU_DEP_4) | instskip(NEXT) | instid1(VALU_DEP_4)
	v_bfi_b32 v17, 0xffff, v17, v5
	v_sub_f16_e32 v15, v9, v8
                                        ; implicit-def: $vgpr5
.LBB0_19:
	s_wait_alu 0xfffe
	s_and_not1_saveexec_b32 s0, s1
	s_cbranch_execz .LBB0_21
; %bb.20:
	v_dual_mov_b32 v15, 0 :: v_dual_mov_b32 v10, 0
	s_wait_dscnt 0x0
	s_wait_alu 0xfffe
	v_alignbit_b32 v8, s0, v5, 16
	v_lshrrev_b32_e32 v9, 16, v5
	v_mov_b32_e32 v11, 0
	ds_load_u16 v1, v15 offset:3502
	v_pk_add_f16 v8, v8, v5
	v_sub_f16_e32 v16, v5, v9
	s_delay_alu instid0(VALU_DEP_2)
	v_pack_b32_f16 v17, v8, 0
	s_wait_dscnt 0x0
	v_xor_b32_e32 v1, 0x8000, v1
	ds_store_b16 v15, v1 offset:3502
.LBB0_21:
	s_wait_alu 0xfffe
	s_or_b32 exec_lo, exec_lo, s0
	s_wait_dscnt 0x0
	v_mov_b32_e32 v5, 0
	s_delay_alu instid0(VALU_DEP_1) | instskip(NEXT) | instid1(VALU_DEP_1)
	v_lshlrev_b64_e32 v[8:9], 2, v[4:5]
	v_add_co_u32 v8, s0, s4, v8
	s_wait_alu 0xf1ff
	s_delay_alu instid0(VALU_DEP_2) | instskip(SKIP_2) | instid1(VALU_DEP_1)
	v_add_co_ci_u32_e64 v9, s0, s5, v9, s0
	global_load_b32 v1, v[8:9], off offset:6992
	v_mov_b32_e32 v8, v5
	v_lshlrev_b64_e32 v[7:8], 2, v[7:8]
	s_delay_alu instid0(VALU_DEP_1) | instskip(SKIP_1) | instid1(VALU_DEP_2)
	v_add_co_u32 v7, s0, s4, v7
	s_wait_alu 0xf1ff
	v_add_co_ci_u32_e64 v8, s0, s5, v8, s0
	s_add_nc_u64 s[0:1], s[4:5], 0x1b50
	global_load_b32 v18, v[7:8], off offset:6992
	v_mov_b32_e32 v7, v5
	v_lshlrev_b64_e32 v[8:9], 2, v[10:11]
	s_delay_alu instid0(VALU_DEP_2) | instskip(SKIP_1) | instid1(VALU_DEP_2)
	v_lshlrev_b64_e32 v[4:5], 2, v[6:7]
	s_wait_alu 0xfffe
	v_add_co_u32 v10, s0, s0, v8
	s_wait_alu 0xf1ff
	s_delay_alu instid0(VALU_DEP_3) | instskip(NEXT) | instid1(VALU_DEP_3)
	v_add_co_ci_u32_e64 v11, s0, s1, v9, s0
	v_add_co_u32 v4, s0, s4, v4
	s_wait_alu 0xf1ff
	v_add_co_ci_u32_e64 v5, s0, s5, v5, s0
	s_clause 0x1
	global_load_b32 v10, v[10:11], off offset:2100
	global_load_b32 v4, v[4:5], off offset:6992
	ds_store_b16 v14, v15 offset:7002
	ds_store_b32 v23, v17
	ds_store_b16 v14, v16 offset:7000
	ds_load_b32 v5, v24
	ds_load_b32 v6, v14 offset:6300
	s_wait_dscnt 0x0
	v_pk_add_f16 v7, v5, v6 neg_lo:[0,1] neg_hi:[0,1]
	v_pk_add_f16 v5, v5, v6
	s_delay_alu instid0(VALU_DEP_1) | instskip(SKIP_1) | instid1(VALU_DEP_2)
	v_bfi_b32 v6, 0xffff, v7, v5
	v_bfi_b32 v5, 0xffff, v5, v7
	v_pk_mul_f16 v6, v6, 0.5 op_sel_hi:[1,0]
	s_delay_alu instid0(VALU_DEP_2) | instskip(SKIP_1) | instid1(VALU_DEP_1)
	v_pk_mul_f16 v5, v5, 0.5 op_sel_hi:[1,0]
	s_wait_loadcnt 0x3
	v_pk_fma_f16 v7, v1, v6, v5 op_sel:[1,0,0]
	v_pk_mul_f16 v11, v1, v6 op_sel_hi:[0,1]
	v_pk_fma_f16 v15, v1, v6, v5 op_sel:[1,0,0] neg_lo:[1,0,0] neg_hi:[1,0,0]
	v_pk_fma_f16 v1, v1, v6, v5 op_sel:[1,0,0] neg_lo:[0,0,1] neg_hi:[0,0,1]
	s_delay_alu instid0(VALU_DEP_3) | instskip(SKIP_1) | instid1(VALU_DEP_4)
	v_pk_add_f16 v5, v7, v11 op_sel:[0,1] op_sel_hi:[1,0]
	v_pk_add_f16 v6, v7, v11 op_sel:[0,1] op_sel_hi:[1,0] neg_lo:[0,1] neg_hi:[0,1]
	v_pk_add_f16 v7, v15, v11 op_sel:[0,1] op_sel_hi:[1,0] neg_lo:[0,1] neg_hi:[0,1]
	s_delay_alu instid0(VALU_DEP_4) | instskip(NEXT) | instid1(VALU_DEP_3)
	v_pk_add_f16 v1, v1, v11 op_sel:[0,1] op_sel_hi:[1,0] neg_lo:[0,1] neg_hi:[0,1]
	v_bfi_b32 v5, 0xffff, v5, v6
	s_delay_alu instid0(VALU_DEP_2)
	v_bfi_b32 v1, 0xffff, v7, v1
	ds_store_b32 v24, v5
	ds_store_b32 v14, v1 offset:6300
	ds_load_b32 v1, v13
	ds_load_b32 v5, v14 offset:5600
	s_wait_dscnt 0x0
	v_pk_add_f16 v6, v1, v5 neg_lo:[0,1] neg_hi:[0,1]
	v_pk_add_f16 v1, v1, v5
	s_delay_alu instid0(VALU_DEP_1) | instskip(SKIP_1) | instid1(VALU_DEP_2)
	v_bfi_b32 v5, 0xffff, v6, v1
	v_bfi_b32 v1, 0xffff, v1, v6
	v_pk_mul_f16 v5, v5, 0.5 op_sel_hi:[1,0]
	s_delay_alu instid0(VALU_DEP_2) | instskip(SKIP_1) | instid1(VALU_DEP_2)
	v_pk_mul_f16 v1, v1, 0.5 op_sel_hi:[1,0]
	s_wait_loadcnt 0x2
	v_pk_mul_f16 v7, v18, v5 op_sel_hi:[0,1]
	s_delay_alu instid0(VALU_DEP_2) | instskip(SKIP_2) | instid1(VALU_DEP_3)
	v_pk_fma_f16 v6, v18, v5, v1 op_sel:[1,0,0]
	v_pk_fma_f16 v11, v18, v5, v1 op_sel:[1,0,0] neg_lo:[1,0,0] neg_hi:[1,0,0]
	v_pk_fma_f16 v1, v18, v5, v1 op_sel:[1,0,0] neg_lo:[0,0,1] neg_hi:[0,0,1]
	v_pk_add_f16 v5, v6, v7 op_sel:[0,1] op_sel_hi:[1,0]
	v_pk_add_f16 v6, v6, v7 op_sel:[0,1] op_sel_hi:[1,0] neg_lo:[0,1] neg_hi:[0,1]
	s_delay_alu instid0(VALU_DEP_4) | instskip(NEXT) | instid1(VALU_DEP_4)
	v_pk_add_f16 v11, v11, v7 op_sel:[0,1] op_sel_hi:[1,0] neg_lo:[0,1] neg_hi:[0,1]
	v_pk_add_f16 v1, v1, v7 op_sel:[0,1] op_sel_hi:[1,0] neg_lo:[0,1] neg_hi:[0,1]
	s_delay_alu instid0(VALU_DEP_3) | instskip(NEXT) | instid1(VALU_DEP_2)
	v_bfi_b32 v5, 0xffff, v5, v6
	v_bfi_b32 v1, 0xffff, v11, v1
	ds_store_b32 v13, v5
	ds_store_b32 v14, v1 offset:5600
	ds_load_b32 v1, v23 offset:2100
	ds_load_b32 v5, v14 offset:4900
	s_wait_dscnt 0x0
	v_pk_add_f16 v6, v1, v5 neg_lo:[0,1] neg_hi:[0,1]
	v_pk_add_f16 v1, v1, v5
	s_delay_alu instid0(VALU_DEP_1) | instskip(SKIP_1) | instid1(VALU_DEP_2)
	v_bfi_b32 v5, 0xffff, v6, v1
	v_bfi_b32 v1, 0xffff, v1, v6
	v_pk_mul_f16 v5, v5, 0.5 op_sel_hi:[1,0]
	s_delay_alu instid0(VALU_DEP_2) | instskip(SKIP_1) | instid1(VALU_DEP_2)
	v_pk_mul_f16 v1, v1, 0.5 op_sel_hi:[1,0]
	s_wait_loadcnt 0x1
	v_pk_mul_f16 v7, v10, v5 op_sel_hi:[0,1]
	s_delay_alu instid0(VALU_DEP_2) | instskip(SKIP_2) | instid1(VALU_DEP_3)
	v_pk_fma_f16 v6, v10, v5, v1 op_sel:[1,0,0]
	v_pk_fma_f16 v11, v10, v5, v1 op_sel:[1,0,0] neg_lo:[1,0,0] neg_hi:[1,0,0]
	v_pk_fma_f16 v1, v10, v5, v1 op_sel:[1,0,0] neg_lo:[0,0,1] neg_hi:[0,0,1]
	v_pk_add_f16 v5, v6, v7 op_sel:[0,1] op_sel_hi:[1,0]
	v_pk_add_f16 v6, v6, v7 op_sel:[0,1] op_sel_hi:[1,0] neg_lo:[0,1] neg_hi:[0,1]
	s_delay_alu instid0(VALU_DEP_4) | instskip(NEXT) | instid1(VALU_DEP_4)
	v_pk_add_f16 v10, v11, v7 op_sel:[0,1] op_sel_hi:[1,0] neg_lo:[0,1] neg_hi:[0,1]
	v_pk_add_f16 v1, v1, v7 op_sel:[0,1] op_sel_hi:[1,0] neg_lo:[0,1] neg_hi:[0,1]
	s_delay_alu instid0(VALU_DEP_3) | instskip(NEXT) | instid1(VALU_DEP_2)
	v_bfi_b32 v5, 0xffff, v5, v6
	v_bfi_b32 v1, 0xffff, v10, v1
	ds_store_b32 v23, v5 offset:2100
	ds_store_b32 v14, v1 offset:4900
	ds_load_b32 v1, v12
	ds_load_b32 v5, v14 offset:4200
	s_wait_dscnt 0x0
	v_pk_add_f16 v6, v1, v5 neg_lo:[0,1] neg_hi:[0,1]
	v_pk_add_f16 v1, v1, v5
	s_delay_alu instid0(VALU_DEP_1) | instskip(SKIP_1) | instid1(VALU_DEP_2)
	v_bfi_b32 v5, 0xffff, v6, v1
	v_bfi_b32 v1, 0xffff, v1, v6
	v_pk_mul_f16 v5, v5, 0.5 op_sel_hi:[1,0]
	s_delay_alu instid0(VALU_DEP_2) | instskip(SKIP_1) | instid1(VALU_DEP_2)
	v_pk_mul_f16 v1, v1, 0.5 op_sel_hi:[1,0]
	s_wait_loadcnt 0x0
	v_pk_mul_f16 v7, v4, v5 op_sel_hi:[0,1]
	s_delay_alu instid0(VALU_DEP_2) | instskip(SKIP_2) | instid1(VALU_DEP_3)
	v_pk_fma_f16 v6, v4, v5, v1 op_sel:[1,0,0]
	v_pk_fma_f16 v10, v4, v5, v1 op_sel:[1,0,0] neg_lo:[1,0,0] neg_hi:[1,0,0]
	v_pk_fma_f16 v1, v4, v5, v1 op_sel:[1,0,0] neg_lo:[0,0,1] neg_hi:[0,0,1]
	v_pk_add_f16 v4, v6, v7 op_sel:[0,1] op_sel_hi:[1,0]
	v_pk_add_f16 v5, v6, v7 op_sel:[0,1] op_sel_hi:[1,0] neg_lo:[0,1] neg_hi:[0,1]
	s_delay_alu instid0(VALU_DEP_4) | instskip(NEXT) | instid1(VALU_DEP_4)
	v_pk_add_f16 v6, v10, v7 op_sel:[0,1] op_sel_hi:[1,0] neg_lo:[0,1] neg_hi:[0,1]
	v_pk_add_f16 v1, v1, v7 op_sel:[0,1] op_sel_hi:[1,0] neg_lo:[0,1] neg_hi:[0,1]
	s_delay_alu instid0(VALU_DEP_3) | instskip(NEXT) | instid1(VALU_DEP_2)
	v_bfi_b32 v4, 0xffff, v4, v5
	v_bfi_b32 v1, 0xffff, v6, v1
	ds_store_b32 v12, v4
	ds_store_b32 v14, v1 offset:4200
	global_wb scope:SCOPE_SE
	s_wait_dscnt 0x0
	s_barrier_signal -1
	s_barrier_wait -1
	global_inv scope:SCOPE_SE
	s_and_saveexec_b32 s0, vcc_lo
	s_cbranch_execz .LBB0_24
; %bb.22:
	v_add_nc_u32_e32 v1, 0x500, v23
	v_add_nc_u32_e32 v10, 0xa00, v23
	;; [unrolled: 1-line block ×4, first 2 shown]
	ds_load_2addr_b32 v[4:5], v23 offset1:175
	ds_load_2addr_b32 v[6:7], v1 offset0:30 offset1:205
	ds_load_2addr_b32 v[10:11], v10 offset0:60 offset1:235
	;; [unrolled: 1-line block ×4, first 2 shown]
	v_add_co_u32 v1, vcc_lo, s8, v2
	s_wait_alu 0xfffd
	v_add_co_ci_u32_e32 v2, vcc_lo, s9, v3, vcc_lo
	s_delay_alu instid0(VALU_DEP_2) | instskip(SKIP_1) | instid1(VALU_DEP_2)
	v_add_co_u32 v8, vcc_lo, v1, v8
	s_wait_alu 0xfffd
	v_add_co_ci_u32_e32 v9, vcc_lo, v2, v9, vcc_lo
	v_cmp_eq_u32_e32 vcc_lo, 0xae, v0
	s_wait_dscnt 0x4
	s_clause 0x1
	global_store_b32 v[8:9], v4, off
	global_store_b32 v[8:9], v5, off offset:700
	s_wait_dscnt 0x3
	s_clause 0x1
	global_store_b32 v[8:9], v6, off offset:1400
	global_store_b32 v[8:9], v7, off offset:2100
	s_wait_dscnt 0x2
	s_clause 0x1
	global_store_b32 v[8:9], v10, off offset:2800
	;; [unrolled: 4-line block ×4, first 2 shown]
	global_store_b32 v[8:9], v15, off offset:6300
	s_and_b32 exec_lo, exec_lo, vcc_lo
	s_cbranch_execz .LBB0_24
; %bb.23:
	v_mov_b32_e32 v0, 0
	ds_load_b32 v0, v0 offset:7000
	s_wait_dscnt 0x0
	global_store_b32 v[1:2], v0, off offset:7000
.LBB0_24:
	s_nop 0
	s_sendmsg sendmsg(MSG_DEALLOC_VGPRS)
	s_endpgm
	.section	.rodata,"a",@progbits
	.p2align	6, 0x0
	.amdhsa_kernel fft_rtc_fwd_len1750_factors_2_5_5_7_5_wgs_175_tpt_175_halfLds_half_ip_CI_unitstride_sbrr_R2C_dirReg
		.amdhsa_group_segment_fixed_size 0
		.amdhsa_private_segment_fixed_size 0
		.amdhsa_kernarg_size 88
		.amdhsa_user_sgpr_count 2
		.amdhsa_user_sgpr_dispatch_ptr 0
		.amdhsa_user_sgpr_queue_ptr 0
		.amdhsa_user_sgpr_kernarg_segment_ptr 1
		.amdhsa_user_sgpr_dispatch_id 0
		.amdhsa_user_sgpr_private_segment_size 0
		.amdhsa_wavefront_size32 1
		.amdhsa_uses_dynamic_stack 0
		.amdhsa_enable_private_segment 0
		.amdhsa_system_sgpr_workgroup_id_x 1
		.amdhsa_system_sgpr_workgroup_id_y 0
		.amdhsa_system_sgpr_workgroup_id_z 0
		.amdhsa_system_sgpr_workgroup_info 0
		.amdhsa_system_vgpr_workitem_id 0
		.amdhsa_next_free_vgpr 80
		.amdhsa_next_free_sgpr 32
		.amdhsa_reserve_vcc 1
		.amdhsa_float_round_mode_32 0
		.amdhsa_float_round_mode_16_64 0
		.amdhsa_float_denorm_mode_32 3
		.amdhsa_float_denorm_mode_16_64 3
		.amdhsa_fp16_overflow 0
		.amdhsa_workgroup_processor_mode 1
		.amdhsa_memory_ordered 1
		.amdhsa_forward_progress 0
		.amdhsa_round_robin_scheduling 0
		.amdhsa_exception_fp_ieee_invalid_op 0
		.amdhsa_exception_fp_denorm_src 0
		.amdhsa_exception_fp_ieee_div_zero 0
		.amdhsa_exception_fp_ieee_overflow 0
		.amdhsa_exception_fp_ieee_underflow 0
		.amdhsa_exception_fp_ieee_inexact 0
		.amdhsa_exception_int_div_zero 0
	.end_amdhsa_kernel
	.text
.Lfunc_end0:
	.size	fft_rtc_fwd_len1750_factors_2_5_5_7_5_wgs_175_tpt_175_halfLds_half_ip_CI_unitstride_sbrr_R2C_dirReg, .Lfunc_end0-fft_rtc_fwd_len1750_factors_2_5_5_7_5_wgs_175_tpt_175_halfLds_half_ip_CI_unitstride_sbrr_R2C_dirReg
                                        ; -- End function
	.section	.AMDGPU.csdata,"",@progbits
; Kernel info:
; codeLenInByte = 9696
; NumSgprs: 34
; NumVgprs: 80
; ScratchSize: 0
; MemoryBound: 0
; FloatMode: 240
; IeeeMode: 1
; LDSByteSize: 0 bytes/workgroup (compile time only)
; SGPRBlocks: 4
; VGPRBlocks: 9
; NumSGPRsForWavesPerEU: 34
; NumVGPRsForWavesPerEU: 80
; Occupancy: 15
; WaveLimiterHint : 1
; COMPUTE_PGM_RSRC2:SCRATCH_EN: 0
; COMPUTE_PGM_RSRC2:USER_SGPR: 2
; COMPUTE_PGM_RSRC2:TRAP_HANDLER: 0
; COMPUTE_PGM_RSRC2:TGID_X_EN: 1
; COMPUTE_PGM_RSRC2:TGID_Y_EN: 0
; COMPUTE_PGM_RSRC2:TGID_Z_EN: 0
; COMPUTE_PGM_RSRC2:TIDIG_COMP_CNT: 0
	.text
	.p2alignl 7, 3214868480
	.fill 96, 4, 3214868480
	.type	__hip_cuid_b52d04ab00f563e8,@object ; @__hip_cuid_b52d04ab00f563e8
	.section	.bss,"aw",@nobits
	.globl	__hip_cuid_b52d04ab00f563e8
__hip_cuid_b52d04ab00f563e8:
	.byte	0                               ; 0x0
	.size	__hip_cuid_b52d04ab00f563e8, 1

	.ident	"AMD clang version 19.0.0git (https://github.com/RadeonOpenCompute/llvm-project roc-6.4.0 25133 c7fe45cf4b819c5991fe208aaa96edf142730f1d)"
	.section	".note.GNU-stack","",@progbits
	.addrsig
	.addrsig_sym __hip_cuid_b52d04ab00f563e8
	.amdgpu_metadata
---
amdhsa.kernels:
  - .args:
      - .actual_access:  read_only
        .address_space:  global
        .offset:         0
        .size:           8
        .value_kind:     global_buffer
      - .offset:         8
        .size:           8
        .value_kind:     by_value
      - .actual_access:  read_only
        .address_space:  global
        .offset:         16
        .size:           8
        .value_kind:     global_buffer
      - .actual_access:  read_only
        .address_space:  global
        .offset:         24
        .size:           8
        .value_kind:     global_buffer
      - .offset:         32
        .size:           8
        .value_kind:     by_value
      - .actual_access:  read_only
        .address_space:  global
        .offset:         40
        .size:           8
        .value_kind:     global_buffer
      - .actual_access:  read_only
        .address_space:  global
        .offset:         48
        .size:           8
        .value_kind:     global_buffer
      - .offset:         56
        .size:           4
        .value_kind:     by_value
      - .actual_access:  read_only
        .address_space:  global
        .offset:         64
        .size:           8
        .value_kind:     global_buffer
      - .actual_access:  read_only
        .address_space:  global
        .offset:         72
        .size:           8
        .value_kind:     global_buffer
      - .address_space:  global
        .offset:         80
        .size:           8
        .value_kind:     global_buffer
    .group_segment_fixed_size: 0
    .kernarg_segment_align: 8
    .kernarg_segment_size: 88
    .language:       OpenCL C
    .language_version:
      - 2
      - 0
    .max_flat_workgroup_size: 175
    .name:           fft_rtc_fwd_len1750_factors_2_5_5_7_5_wgs_175_tpt_175_halfLds_half_ip_CI_unitstride_sbrr_R2C_dirReg
    .private_segment_fixed_size: 0
    .sgpr_count:     34
    .sgpr_spill_count: 0
    .symbol:         fft_rtc_fwd_len1750_factors_2_5_5_7_5_wgs_175_tpt_175_halfLds_half_ip_CI_unitstride_sbrr_R2C_dirReg.kd
    .uniform_work_group_size: 1
    .uses_dynamic_stack: false
    .vgpr_count:     80
    .vgpr_spill_count: 0
    .wavefront_size: 32
    .workgroup_processor_mode: 1
amdhsa.target:   amdgcn-amd-amdhsa--gfx1201
amdhsa.version:
  - 1
  - 2
...

	.end_amdgpu_metadata
